;; amdgpu-corpus repo=ROCm/rocFFT kind=compiled arch=gfx906 opt=O3
	.text
	.amdgcn_target "amdgcn-amd-amdhsa--gfx906"
	.amdhsa_code_object_version 6
	.protected	fft_rtc_fwd_len1274_factors_2_13_7_7_wgs_182_tpt_182_halfLds_sp_ip_CI_unitstride_sbrr_R2C_dirReg ; -- Begin function fft_rtc_fwd_len1274_factors_2_13_7_7_wgs_182_tpt_182_halfLds_sp_ip_CI_unitstride_sbrr_R2C_dirReg
	.globl	fft_rtc_fwd_len1274_factors_2_13_7_7_wgs_182_tpt_182_halfLds_sp_ip_CI_unitstride_sbrr_R2C_dirReg
	.p2align	8
	.type	fft_rtc_fwd_len1274_factors_2_13_7_7_wgs_182_tpt_182_halfLds_sp_ip_CI_unitstride_sbrr_R2C_dirReg,@function
fft_rtc_fwd_len1274_factors_2_13_7_7_wgs_182_tpt_182_halfLds_sp_ip_CI_unitstride_sbrr_R2C_dirReg: ; @fft_rtc_fwd_len1274_factors_2_13_7_7_wgs_182_tpt_182_halfLds_sp_ip_CI_unitstride_sbrr_R2C_dirReg
; %bb.0:
	s_load_dwordx2 s[12:13], s[4:5], 0x50
	s_load_dwordx4 s[8:11], s[4:5], 0x0
	s_load_dwordx2 s[2:3], s[4:5], 0x18
	v_mul_u32_u24_e32 v1, 0x169, v0
	v_add_u32_sdwa v5, s6, v1 dst_sel:DWORD dst_unused:UNUSED_PAD src0_sel:DWORD src1_sel:WORD_1
	v_mov_b32_e32 v3, 0
	s_waitcnt lgkmcnt(0)
	v_cmp_lt_u64_e64 s[0:1], s[10:11], 2
	v_mov_b32_e32 v1, 0
	v_mov_b32_e32 v6, v3
	s_and_b64 vcc, exec, s[0:1]
	v_mov_b32_e32 v2, 0
	s_cbranch_vccnz .LBB0_8
; %bb.1:
	s_load_dwordx2 s[0:1], s[4:5], 0x10
	s_add_u32 s6, s2, 8
	s_addc_u32 s7, s3, 0
	v_mov_b32_e32 v1, 0
	v_mov_b32_e32 v2, 0
	s_waitcnt lgkmcnt(0)
	s_add_u32 s14, s0, 8
	s_addc_u32 s15, s1, 0
	s_mov_b64 s[16:17], 1
.LBB0_2:                                ; =>This Inner Loop Header: Depth=1
	s_load_dwordx2 s[18:19], s[14:15], 0x0
                                        ; implicit-def: $vgpr7_vgpr8
	s_waitcnt lgkmcnt(0)
	v_or_b32_e32 v4, s19, v6
	v_cmp_ne_u64_e32 vcc, 0, v[3:4]
	s_and_saveexec_b64 s[0:1], vcc
	s_xor_b64 s[20:21], exec, s[0:1]
	s_cbranch_execz .LBB0_4
; %bb.3:                                ;   in Loop: Header=BB0_2 Depth=1
	v_cvt_f32_u32_e32 v4, s18
	v_cvt_f32_u32_e32 v7, s19
	s_sub_u32 s0, 0, s18
	s_subb_u32 s1, 0, s19
	v_mac_f32_e32 v4, 0x4f800000, v7
	v_rcp_f32_e32 v4, v4
	v_mul_f32_e32 v4, 0x5f7ffffc, v4
	v_mul_f32_e32 v7, 0x2f800000, v4
	v_trunc_f32_e32 v7, v7
	v_mac_f32_e32 v4, 0xcf800000, v7
	v_cvt_u32_f32_e32 v7, v7
	v_cvt_u32_f32_e32 v4, v4
	v_mul_lo_u32 v8, s0, v7
	v_mul_hi_u32 v9, s0, v4
	v_mul_lo_u32 v11, s1, v4
	v_mul_lo_u32 v10, s0, v4
	v_add_u32_e32 v8, v9, v8
	v_add_u32_e32 v8, v8, v11
	v_mul_hi_u32 v9, v4, v10
	v_mul_lo_u32 v11, v4, v8
	v_mul_hi_u32 v13, v4, v8
	v_mul_hi_u32 v12, v7, v10
	v_mul_lo_u32 v10, v7, v10
	v_mul_hi_u32 v14, v7, v8
	v_add_co_u32_e32 v9, vcc, v9, v11
	v_addc_co_u32_e32 v11, vcc, 0, v13, vcc
	v_mul_lo_u32 v8, v7, v8
	v_add_co_u32_e32 v9, vcc, v9, v10
	v_addc_co_u32_e32 v9, vcc, v11, v12, vcc
	v_addc_co_u32_e32 v10, vcc, 0, v14, vcc
	v_add_co_u32_e32 v8, vcc, v9, v8
	v_addc_co_u32_e32 v9, vcc, 0, v10, vcc
	v_add_co_u32_e32 v4, vcc, v4, v8
	v_addc_co_u32_e32 v7, vcc, v7, v9, vcc
	v_mul_lo_u32 v8, s0, v7
	v_mul_hi_u32 v9, s0, v4
	v_mul_lo_u32 v10, s1, v4
	v_mul_lo_u32 v11, s0, v4
	v_add_u32_e32 v8, v9, v8
	v_add_u32_e32 v8, v8, v10
	v_mul_lo_u32 v12, v4, v8
	v_mul_hi_u32 v13, v4, v11
	v_mul_hi_u32 v14, v4, v8
	;; [unrolled: 1-line block ×3, first 2 shown]
	v_mul_lo_u32 v11, v7, v11
	v_mul_hi_u32 v9, v7, v8
	v_add_co_u32_e32 v12, vcc, v13, v12
	v_addc_co_u32_e32 v13, vcc, 0, v14, vcc
	v_mul_lo_u32 v8, v7, v8
	v_add_co_u32_e32 v11, vcc, v12, v11
	v_addc_co_u32_e32 v10, vcc, v13, v10, vcc
	v_addc_co_u32_e32 v9, vcc, 0, v9, vcc
	v_add_co_u32_e32 v8, vcc, v10, v8
	v_addc_co_u32_e32 v9, vcc, 0, v9, vcc
	v_add_co_u32_e32 v4, vcc, v4, v8
	v_addc_co_u32_e32 v9, vcc, v7, v9, vcc
	v_mad_u64_u32 v[7:8], s[0:1], v5, v9, 0
	v_mul_hi_u32 v10, v5, v4
	v_add_co_u32_e32 v11, vcc, v10, v7
	v_addc_co_u32_e32 v12, vcc, 0, v8, vcc
	v_mad_u64_u32 v[7:8], s[0:1], v6, v4, 0
	v_mad_u64_u32 v[9:10], s[0:1], v6, v9, 0
	v_add_co_u32_e32 v4, vcc, v11, v7
	v_addc_co_u32_e32 v4, vcc, v12, v8, vcc
	v_addc_co_u32_e32 v7, vcc, 0, v10, vcc
	v_add_co_u32_e32 v4, vcc, v4, v9
	v_addc_co_u32_e32 v9, vcc, 0, v7, vcc
	v_mul_lo_u32 v10, s19, v4
	v_mul_lo_u32 v11, s18, v9
	v_mad_u64_u32 v[7:8], s[0:1], s18, v4, 0
	v_add3_u32 v8, v8, v11, v10
	v_sub_u32_e32 v10, v6, v8
	v_mov_b32_e32 v11, s19
	v_sub_co_u32_e32 v7, vcc, v5, v7
	v_subb_co_u32_e64 v10, s[0:1], v10, v11, vcc
	v_subrev_co_u32_e64 v11, s[0:1], s18, v7
	v_subbrev_co_u32_e64 v10, s[0:1], 0, v10, s[0:1]
	v_cmp_le_u32_e64 s[0:1], s19, v10
	v_cndmask_b32_e64 v12, 0, -1, s[0:1]
	v_cmp_le_u32_e64 s[0:1], s18, v11
	v_cndmask_b32_e64 v11, 0, -1, s[0:1]
	v_cmp_eq_u32_e64 s[0:1], s19, v10
	v_cndmask_b32_e64 v10, v12, v11, s[0:1]
	v_add_co_u32_e64 v11, s[0:1], 2, v4
	v_addc_co_u32_e64 v12, s[0:1], 0, v9, s[0:1]
	v_add_co_u32_e64 v13, s[0:1], 1, v4
	v_addc_co_u32_e64 v14, s[0:1], 0, v9, s[0:1]
	v_subb_co_u32_e32 v8, vcc, v6, v8, vcc
	v_cmp_ne_u32_e64 s[0:1], 0, v10
	v_cmp_le_u32_e32 vcc, s19, v8
	v_cndmask_b32_e64 v10, v14, v12, s[0:1]
	v_cndmask_b32_e64 v12, 0, -1, vcc
	v_cmp_le_u32_e32 vcc, s18, v7
	v_cndmask_b32_e64 v7, 0, -1, vcc
	v_cmp_eq_u32_e32 vcc, s19, v8
	v_cndmask_b32_e32 v7, v12, v7, vcc
	v_cmp_ne_u32_e32 vcc, 0, v7
	v_cndmask_b32_e64 v7, v13, v11, s[0:1]
	v_cndmask_b32_e32 v8, v9, v10, vcc
	v_cndmask_b32_e32 v7, v4, v7, vcc
.LBB0_4:                                ;   in Loop: Header=BB0_2 Depth=1
	s_andn2_saveexec_b64 s[0:1], s[20:21]
	s_cbranch_execz .LBB0_6
; %bb.5:                                ;   in Loop: Header=BB0_2 Depth=1
	v_cvt_f32_u32_e32 v4, s18
	s_sub_i32 s20, 0, s18
	v_rcp_iflag_f32_e32 v4, v4
	v_mul_f32_e32 v4, 0x4f7ffffe, v4
	v_cvt_u32_f32_e32 v4, v4
	v_mul_lo_u32 v7, s20, v4
	v_mul_hi_u32 v7, v4, v7
	v_add_u32_e32 v4, v4, v7
	v_mul_hi_u32 v4, v5, v4
	v_mul_lo_u32 v7, v4, s18
	v_add_u32_e32 v8, 1, v4
	v_sub_u32_e32 v7, v5, v7
	v_subrev_u32_e32 v9, s18, v7
	v_cmp_le_u32_e32 vcc, s18, v7
	v_cndmask_b32_e32 v7, v7, v9, vcc
	v_cndmask_b32_e32 v4, v4, v8, vcc
	v_add_u32_e32 v8, 1, v4
	v_cmp_le_u32_e32 vcc, s18, v7
	v_cndmask_b32_e32 v7, v4, v8, vcc
	v_mov_b32_e32 v8, v3
.LBB0_6:                                ;   in Loop: Header=BB0_2 Depth=1
	s_or_b64 exec, exec, s[0:1]
	v_mul_lo_u32 v4, v8, s18
	v_mul_lo_u32 v11, v7, s19
	v_mad_u64_u32 v[9:10], s[0:1], v7, s18, 0
	s_load_dwordx2 s[0:1], s[6:7], 0x0
	s_add_u32 s16, s16, 1
	v_add3_u32 v4, v10, v11, v4
	v_sub_co_u32_e32 v5, vcc, v5, v9
	v_subb_co_u32_e32 v4, vcc, v6, v4, vcc
	s_waitcnt lgkmcnt(0)
	v_mul_lo_u32 v4, s0, v4
	v_mul_lo_u32 v6, s1, v5
	v_mad_u64_u32 v[1:2], s[0:1], s0, v5, v[1:2]
	s_addc_u32 s17, s17, 0
	s_add_u32 s6, s6, 8
	v_add3_u32 v2, v6, v2, v4
	v_mov_b32_e32 v4, s10
	v_mov_b32_e32 v5, s11
	s_addc_u32 s7, s7, 0
	v_cmp_ge_u64_e32 vcc, s[16:17], v[4:5]
	s_add_u32 s14, s14, 8
	s_addc_u32 s15, s15, 0
	s_cbranch_vccnz .LBB0_9
; %bb.7:                                ;   in Loop: Header=BB0_2 Depth=1
	v_mov_b32_e32 v5, v7
	v_mov_b32_e32 v6, v8
	s_branch .LBB0_2
.LBB0_8:
	v_mov_b32_e32 v8, v6
	v_mov_b32_e32 v7, v5
.LBB0_9:
	s_lshl_b64 s[0:1], s[10:11], 3
	s_add_u32 s0, s2, s0
	s_addc_u32 s1, s3, s1
	s_load_dwordx2 s[2:3], s[0:1], 0x0
	s_load_dwordx2 s[6:7], s[4:5], 0x20
                                        ; implicit-def: $vgpr29
                                        ; implicit-def: $vgpr31
                                        ; implicit-def: $vgpr28
	s_waitcnt lgkmcnt(0)
	v_mad_u64_u32 v[1:2], s[0:1], s2, v7, v[1:2]
	s_mov_b32 s0, 0x1681682
	v_mul_lo_u32 v3, s2, v8
	v_mul_lo_u32 v4, s3, v7
	v_mul_hi_u32 v5, v0, s0
	v_cmp_gt_u64_e64 s[0:1], s[6:7], v[7:8]
	v_cmp_le_u64_e32 vcc, s[6:7], v[7:8]
	v_add3_u32 v2, v4, v2, v3
	v_mul_u32_u24_e32 v3, 0xb6, v5
	v_sub_u32_e32 v24, v0, v3
	s_and_saveexec_b64 s[2:3], vcc
	s_xor_b64 s[2:3], exec, s[2:3]
; %bb.10:
	v_add_u32_e32 v29, 0xb6, v24
	v_add_u32_e32 v31, 0x16c, v24
	;; [unrolled: 1-line block ×3, first 2 shown]
; %bb.11:
	s_or_saveexec_b64 s[2:3], s[2:3]
	v_lshlrev_b64 v[26:27], 3, v[1:2]
	s_xor_b64 exec, exec, s[2:3]
	s_cbranch_execz .LBB0_13
; %bb.12:
	v_mov_b32_e32 v25, 0
	v_mov_b32_e32 v0, s13
	v_add_co_u32_e32 v2, vcc, s12, v26
	v_addc_co_u32_e32 v3, vcc, v0, v27, vcc
	v_lshlrev_b64 v[0:1], 3, v[24:25]
	s_movk_i32 s4, 0x1000
	v_add_co_u32_e32 v0, vcc, v2, v0
	v_addc_co_u32_e32 v1, vcc, v3, v1, vcc
	v_add_co_u32_e32 v2, vcc, s4, v0
	v_addc_co_u32_e32 v3, vcc, 0, v1, vcc
	global_load_dwordx2 v[4:5], v[0:1], off
	global_load_dwordx2 v[6:7], v[0:1], off offset:1456
	global_load_dwordx2 v[8:9], v[0:1], off offset:2912
	global_load_dwordx2 v[10:11], v[2:3], off offset:272
	v_add_co_u32_e32 v0, vcc, 0x2000, v0
	v_addc_co_u32_e32 v1, vcc, 0, v1, vcc
	global_load_dwordx2 v[12:13], v[2:3], off offset:1728
	global_load_dwordx2 v[14:15], v[2:3], off offset:3184
	;; [unrolled: 1-line block ×3, first 2 shown]
	v_lshl_add_u32 v0, v24, 3, 0
	v_add_u32_e32 v29, 0xb6, v24
	v_add_u32_e32 v31, 0x16c, v24
	;; [unrolled: 1-line block ×5, first 2 shown]
	s_waitcnt vmcnt(5)
	ds_write2_b64 v0, v[4:5], v[6:7] offset1:182
	s_waitcnt vmcnt(3)
	ds_write2_b64 v1, v[8:9], v[10:11] offset0:44 offset1:226
	s_waitcnt vmcnt(1)
	ds_write2_b64 v2, v[12:13], v[14:15] offset0:24 offset1:206
	s_waitcnt vmcnt(0)
	ds_write_b64 v0, v[16:17] offset:8736
.LBB0_13:
	s_or_b64 exec, exec, s[2:3]
	v_lshlrev_b32_e32 v25, 3, v24
	v_add_u32_e32 v34, 0, v25
	v_add_u32_e32 v0, 0x1200, v34
	s_waitcnt lgkmcnt(0)
	s_barrier
	ds_read2_b64 v[2:5], v0 offset0:61 offset1:243
	v_add_u32_e32 v0, 0xa00, v34
	ds_read2_b64 v[8:11], v34 offset1:182
	ds_read2_b64 v[16:19], v0 offset0:44 offset1:226
	v_add_u32_e32 v0, 0x1e00, v34
	ds_read2_b64 v[12:15], v0 offset0:41 offset1:223
	s_waitcnt lgkmcnt(0)
	v_sub_f32_e32 v6, v10, v4
	v_sub_f32_e32 v2, v8, v2
	;; [unrolled: 1-line block ×3, first 2 shown]
	v_fma_f32 v4, v10, 2.0, -v6
	v_sub_f32_e32 v10, v16, v12
	v_sub_f32_e32 v7, v11, v5
	v_fma_f32 v0, v8, 2.0, -v2
	v_fma_f32 v1, v9, 2.0, -v3
	;; [unrolled: 1-line block ×3, first 2 shown]
	v_add_u32_e32 v16, v34, v25
	v_fma_f32 v5, v11, 2.0, -v7
	v_sub_f32_e32 v11, v17, v13
	v_sub_f32_e32 v14, v18, v14
	;; [unrolled: 1-line block ×3, first 2 shown]
	s_barrier
	ds_write2_b64 v16, v[0:1], v[2:3] offset1:1
	v_lshl_add_u32 v16, v29, 4, 0
	s_movk_i32 s2, 0x5b
	v_fma_f32 v9, v17, 2.0, -v11
	v_fma_f32 v12, v18, 2.0, -v14
	;; [unrolled: 1-line block ×3, first 2 shown]
	ds_write2_b64 v16, v[4:5], v[6:7] offset1:1
	v_lshl_add_u32 v16, v31, 4, 0
	v_cmp_gt_u32_e32 vcc, s2, v24
	ds_write2_b64 v16, v[8:9], v[10:11] offset1:1
	s_and_saveexec_b64 s[2:3], vcc
	s_cbranch_execz .LBB0_15
; %bb.14:
	v_lshl_add_u32 v16, v28, 4, 0
	ds_write2_b64 v16, v[12:13], v[14:15] offset1:1
.LBB0_15:
	s_or_b64 exec, exec, s[2:3]
	s_movk_i32 s2, 0x62
	v_cmp_gt_u32_e64 s[2:3], s2, v24
	s_waitcnt lgkmcnt(0)
	s_barrier
	s_waitcnt lgkmcnt(0)
                                        ; implicit-def: $vgpr33
                                        ; implicit-def: $vgpr23
                                        ; implicit-def: $vgpr19
	s_and_saveexec_b64 s[4:5], s[2:3]
	s_cbranch_execz .LBB0_17
; %bb.16:
	v_add_u32_e32 v4, 0x400, v34
	v_add_u32_e32 v8, 0x800, v34
	;; [unrolled: 1-line block ×5, first 2 shown]
	ds_read2_b64 v[0:3], v34 offset1:98
	ds_read2_b64 v[4:7], v4 offset0:68 offset1:166
	ds_read2_b64 v[8:11], v8 offset0:136 offset1:234
	;; [unrolled: 1-line block ×4, first 2 shown]
	ds_read_b64 v[32:33], v34 offset:9408
	ds_read2_b64 v[20:23], v20 offset0:84 offset1:182
.LBB0_17:
	s_or_b64 exec, exec, s[4:5]
	s_waitcnt lgkmcnt(0)
	s_barrier
	s_and_saveexec_b64 s[4:5], s[2:3]
	s_cbranch_execz .LBB0_19
; %bb.18:
	v_and_b32_e32 v30, 1, v24
	v_mul_u32_u24_e32 v35, 12, v30
	v_lshlrev_b32_e32 v35, 3, v35
	global_load_dwordx4 v[46:49], v35, s[8:9] offset:80
	global_load_dwordx4 v[50:53], v35, s[8:9] offset:64
	;; [unrolled: 1-line block ×5, first 2 shown]
	global_load_dwordx4 v[66:69], v35, s[8:9]
	s_mov_b32 s2, 0xbf788fa5
	s_mov_b32 s11, 0x3f62ad3f
	;; [unrolled: 1-line block ×6, first 2 shown]
	s_waitcnt vmcnt(5)
	v_mul_f32_e32 v70, v33, v49
	v_mul_f32_e32 v35, v32, v49
	v_mul_f32_e32 v49, v23, v47
	v_mul_f32_e32 v36, v22, v47
	s_waitcnt vmcnt(4)
	v_mul_f32_e32 v47, v21, v53
	v_mul_f32_e32 v37, v20, v53
	v_mul_f32_e32 v53, v19, v51
	v_mul_f32_e32 v38, v18, v51
	;; [unrolled: 5-line block ×6, first 2 shown]
	v_fma_f32 v32, v32, v48, -v70
	v_fma_f32 v2, v2, v66, -v69
	v_fmac_f32_e32 v67, v3, v66
	v_sub_f32_e32 v3, v2, v32
	v_fmac_f32_e32 v35, v33, v48
	v_fmac_f32_e32 v40, v15, v54
	;; [unrolled: 1-line block ×6, first 2 shown]
	v_mul_f32_e32 v7, 0xbe750f2a, v3
	v_mul_f32_e32 v9, 0xbf29c268, v3
	;; [unrolled: 1-line block ×6, first 2 shown]
	v_fma_f32 v22, v22, v46, -v49
	v_fmac_f32_e32 v36, v23, v46
	v_fmac_f32_e32 v37, v21, v52
	;; [unrolled: 1-line block ×5, first 2 shown]
	v_add_f32_e32 v5, v67, v35
	v_mov_b32_e32 v17, v7
	v_mov_b32_e32 v19, v9
	;; [unrolled: 1-line block ×6, first 2 shown]
	v_fma_f32 v7, v5, s2, -v7
	v_fma_f32 v9, v5, s3, -v9
	;; [unrolled: 1-line block ×6, first 2 shown]
	v_fmac_f32_e32 v17, 0xbf788fa5, v5
	v_fmac_f32_e32 v19, 0xbf3f9e67, v5
	;; [unrolled: 1-line block ×6, first 2 shown]
	v_sub_f32_e32 v5, v67, v35
	v_fma_f32 v20, v20, v52, -v47
	v_fma_f32 v18, v18, v50, -v53
	;; [unrolled: 1-line block ×3, first 2 shown]
	v_mul_f32_e32 v47, 0xbe750f2a, v5
	v_mul_f32_e32 v48, 0xbf29c268, v5
	;; [unrolled: 1-line block ×6, first 2 shown]
	v_add_f32_e32 v52, v2, v32
	v_fma_f32 v10, v10, v58, -v61
	v_fma_f32 v4, v4, v68, -v63
	;; [unrolled: 1-line block ×3, first 2 shown]
	v_fmac_f32_e32 v5, 0x3f62ad3f, v52
	v_fma_f32 v8, v8, v64, -v59
	v_add_f32_e32 v59, v1, v67
	v_add_f32_e32 v67, v0, v5
	v_sub_f32_e32 v5, v4, v22
	v_fma_f32 v14, v14, v54, -v57
	v_fma_f32 v12, v12, v60, -v55
	;; [unrolled: 1-line block ×3, first 2 shown]
	v_fmac_f32_e32 v47, 0xbf788fa5, v52
	v_fma_f32 v54, v52, s3, -v48
	v_fmac_f32_e32 v48, 0xbf3f9e67, v52
	v_fma_f32 v55, v52, s6, -v49
	;; [unrolled: 2-line block ×4, first 2 shown]
	v_fmac_f32_e32 v51, 0x3f116cb1, v52
	v_mul_f32_e32 v68, 0x3eedf032, v5
	v_fma_f32 v6, v6, v62, -v65
	v_add_f32_e32 v52, v0, v53
	v_add_f32_e32 v53, v0, v54
	;; [unrolled: 1-line block ×13, first 2 shown]
	v_mov_b32_e32 v0, v68
	v_add_f32_e32 v17, v1, v17
	v_fmac_f32_e32 v0, 0x3f62ad3f, v69
	v_add_f32_e32 v0, v0, v17
	v_sub_f32_e32 v17, v6, v20
	v_mul_f32_e32 v70, 0xbf29c268, v17
	v_add_f32_e32 v19, v1, v19
	v_add_f32_e32 v21, v1, v21
	;; [unrolled: 1-line block ×12, first 2 shown]
	v_mov_b32_e32 v1, v70
	v_sub_f32_e32 v72, v8, v18
	v_fmac_f32_e32 v1, 0xbf3f9e67, v71
	v_mul_f32_e32 v73, 0x3f52af12, v72
	v_add_f32_e32 v0, v1, v0
	v_add_f32_e32 v74, v43, v38
	v_mov_b32_e32 v1, v73
	v_sub_f32_e32 v75, v10, v16
	v_fmac_f32_e32 v1, 0x3f116cb1, v74
	v_mul_f32_e32 v76, 0xbf6f5d39, v75
	v_add_f32_e32 v0, v1, v0
	v_add_f32_e32 v77, v42, v39
	v_mov_b32_e32 v1, v76
	v_sub_f32_e32 v79, v45, v36
	v_fmac_f32_e32 v1, 0xbeb58ec6, v77
	v_add_f32_e32 v78, v4, v22
	v_mul_f32_e32 v80, 0x3eedf032, v79
	v_add_f32_e32 v0, v1, v0
	v_fma_f32 v1, v78, s11, -v80
	v_add_f32_e32 v1, v1, v52
	v_sub_f32_e32 v52, v44, v37
	v_add_f32_e32 v81, v6, v20
	v_mul_f32_e32 v82, 0xbf29c268, v52
	v_sub_f32_e32 v84, v43, v38
	v_fma_f32 v2, v81, s3, -v82
	v_add_f32_e32 v83, v8, v18
	v_mul_f32_e32 v85, 0x3f52af12, v84
	v_sub_f32_e32 v87, v42, v39
	v_add_f32_e32 v1, v2, v1
	v_fma_f32 v2, v83, s7, -v85
	v_add_f32_e32 v86, v10, v16
	v_mul_f32_e32 v88, 0xbf6f5d39, v87
	v_sub_f32_e32 v89, v12, v14
	v_add_f32_e32 v1, v2, v1
	v_fma_f32 v2, v86, s6, -v88
	v_mul_f32_e32 v90, 0x3f7e222b, v89
	v_add_f32_e32 v2, v2, v1
	v_add_f32_e32 v91, v41, v40
	v_mov_b32_e32 v1, v90
	v_sub_f32_e32 v93, v41, v40
	v_fmac_f32_e32 v1, 0x3df6dbef, v91
	v_add_f32_e32 v92, v12, v14
	v_mul_f32_e32 v94, 0x3f7e222b, v93
	v_add_f32_e32 v1, v1, v0
	v_fma_f32 v0, v92, s10, -v94
	v_mul_f32_e32 v95, 0x3f7e222b, v5
	v_add_f32_e32 v0, v0, v2
	v_mov_b32_e32 v2, v95
	v_fmac_f32_e32 v2, 0x3df6dbef, v69
	v_add_f32_e32 v2, v2, v19
	v_mul_f32_e32 v19, 0xbf52af12, v17
	v_mov_b32_e32 v3, v19
	v_fmac_f32_e32 v3, 0x3f116cb1, v71
	v_mul_f32_e32 v96, 0x3e750f2a, v72
	v_add_f32_e32 v2, v3, v2
	v_mov_b32_e32 v3, v96
	v_fmac_f32_e32 v3, 0xbf788fa5, v74
	v_mul_f32_e32 v97, 0x3eedf032, v75
	v_add_f32_e32 v2, v3, v2
	;; [unrolled: 4-line block ×3, first 2 shown]
	v_fma_f32 v3, v78, s10, -v98
	v_mul_f32_e32 v99, 0xbf52af12, v52
	v_add_f32_e32 v3, v3, v53
	v_fma_f32 v46, v81, s7, -v99
	v_mul_f32_e32 v100, 0x3e750f2a, v84
	v_add_f32_e32 v3, v46, v3
	;; [unrolled: 3-line block ×4, first 2 shown]
	v_mov_b32_e32 v3, v102
	v_fmac_f32_e32 v3, 0xbeb58ec6, v91
	v_mul_f32_e32 v103, 0xbf6f5d39, v93
	v_add_f32_e32 v3, v3, v2
	v_fma_f32 v2, v92, s6, -v103
	v_mul_f32_e32 v104, 0x3f29c268, v5
	v_add_f32_e32 v2, v2, v46
	v_mov_b32_e32 v46, v104
	v_fmac_f32_e32 v46, 0xbf3f9e67, v69
	v_mul_f32_e32 v105, 0x3eedf032, v17
	v_add_f32_e32 v21, v46, v21
	v_mov_b32_e32 v46, v105
	v_fmac_f32_e32 v46, 0x3f62ad3f, v71
	;; [unrolled: 4-line block ×4, first 2 shown]
	v_mul_f32_e32 v108, 0x3f29c268, v79
	v_add_f32_e32 v21, v46, v21
	v_fma_f32 v46, v78, s3, -v108
	v_add_f32_e32 v46, v46, v54
	v_mul_f32_e32 v54, 0x3eedf032, v52
	v_fma_f32 v47, v81, s11, -v54
	v_mul_f32_e32 v109, 0xbf7e222b, v84
	v_add_f32_e32 v46, v47, v46
	v_fma_f32 v47, v83, s10, -v109
	v_mul_f32_e32 v110, 0x3e750f2a, v87
	v_add_f32_e32 v46, v47, v46
	;; [unrolled: 3-line block ×3, first 2 shown]
	v_mov_b32_e32 v47, v111
	v_fmac_f32_e32 v47, 0x3f116cb1, v91
	v_add_f32_e32 v47, v47, v21
	v_mul_f32_e32 v21, 0x3f52af12, v93
	v_fma_f32 v48, v92, s7, -v21
	v_mul_f32_e32 v112, 0xbe750f2a, v5
	v_add_f32_e32 v46, v48, v46
	v_mov_b32_e32 v48, v112
	v_fmac_f32_e32 v48, 0xbf788fa5, v69
	v_mul_f32_e32 v113, 0x3f6f5d39, v17
	v_add_f32_e32 v23, v48, v23
	v_mov_b32_e32 v48, v113
	v_fmac_f32_e32 v48, 0xbeb58ec6, v71
	;; [unrolled: 4-line block ×4, first 2 shown]
	v_mul_f32_e32 v116, 0xbe750f2a, v79
	v_add_f32_e32 v23, v48, v23
	v_fma_f32 v48, v78, s2, -v116
	v_add_f32_e32 v48, v48, v55
	v_mul_f32_e32 v55, 0x3f6f5d39, v52
	v_add_f32_e32 v4, v60, v4
	v_fma_f32 v49, v81, s6, -v55
	v_mul_f32_e32 v117, 0x3eedf032, v84
	v_add_f32_e32 v4, v4, v6
	v_fma_f32 v6, v69, s11, -v68
	v_add_f32_e32 v48, v49, v48
	v_fma_f32 v49, v83, s11, -v117
	v_mul_f32_e32 v118, 0xbf52af12, v87
	v_add_f32_e32 v6, v6, v7
	v_fma_f32 v7, v71, s3, -v70
	;; [unrolled: 5-line block ×3, first 2 shown]
	v_add_f32_e32 v48, v49, v48
	v_mov_b32_e32 v49, v119
	v_add_f32_e32 v6, v7, v6
	v_fma_f32 v7, v77, s6, -v76
	v_fmac_f32_e32 v80, 0x3f62ad3f, v78
	v_fmac_f32_e32 v49, 0xbf3f9e67, v91
	v_add_f32_e32 v6, v7, v6
	v_add_f32_e32 v7, v80, v61
	v_fmac_f32_e32 v82, 0xbf3f9e67, v81
	v_add_f32_e32 v49, v49, v23
	v_mul_f32_e32 v23, 0xbf29c268, v93
	v_add_f32_e32 v7, v82, v7
	v_fmac_f32_e32 v85, 0x3f116cb1, v83
	v_fma_f32 v50, v92, s3, -v23
	v_mul_f32_e32 v120, 0xbf6f5d39, v5
	v_add_f32_e32 v7, v85, v7
	v_fmac_f32_e32 v88, 0xbeb58ec6, v86
	v_add_f32_e32 v48, v50, v48
	v_mov_b32_e32 v50, v120
	v_add_f32_e32 v4, v4, v8
	v_add_f32_e32 v8, v88, v7
	v_fma_f32 v7, v91, s10, -v90
	v_fmac_f32_e32 v94, 0x3df6dbef, v92
	v_fmac_f32_e32 v50, 0xbeb58ec6, v69
	v_mul_f32_e32 v121, 0xbe750f2a, v17
	v_add_f32_e32 v7, v7, v6
	v_add_f32_e32 v6, v94, v8
	v_fma_f32 v8, v69, s10, -v95
	v_add_f32_e32 v33, v50, v33
	v_mov_b32_e32 v50, v121
	v_add_f32_e32 v8, v8, v9
	v_fma_f32 v9, v71, s7, -v19
	v_fmac_f32_e32 v50, 0xbf788fa5, v71
	v_mul_f32_e32 v122, 0x3f29c268, v72
	v_add_f32_e32 v8, v9, v8
	v_fma_f32 v9, v74, s2, -v96
	v_add_f32_e32 v33, v50, v33
	v_mov_b32_e32 v50, v122
	v_add_f32_e32 v8, v9, v8
	v_fma_f32 v9, v77, s11, -v97
	v_fmac_f32_e32 v98, 0x3df6dbef, v78
	v_fmac_f32_e32 v50, 0xbf3f9e67, v74
	v_mul_f32_e32 v123, 0x3f7e222b, v75
	v_add_f32_e32 v8, v9, v8
	v_add_f32_e32 v9, v98, v62
	v_fmac_f32_e32 v99, 0x3f116cb1, v81
	v_add_f32_e32 v33, v50, v33
	v_mov_b32_e32 v50, v123
	v_add_f32_e32 v9, v99, v9
	v_fmac_f32_e32 v100, 0xbf788fa5, v83
	v_fmac_f32_e32 v50, 0x3df6dbef, v77
	v_mul_f32_e32 v124, 0xbf6f5d39, v79
	v_add_f32_e32 v9, v100, v9
	v_fmac_f32_e32 v101, 0x3f62ad3f, v86
	v_add_f32_e32 v33, v50, v33
	v_fma_f32 v50, v78, s6, -v124
	v_add_f32_e32 v4, v4, v10
	v_add_f32_e32 v10, v101, v9
	v_fma_f32 v9, v91, s6, -v102
	v_fmac_f32_e32 v103, 0xbeb58ec6, v92
	v_add_f32_e32 v50, v50, v56
	v_mul_f32_e32 v56, 0xbe750f2a, v52
	v_add_f32_e32 v9, v9, v8
	v_add_f32_e32 v8, v103, v10
	v_fma_f32 v10, v69, s3, -v104
	v_fma_f32 v51, v81, s2, -v56
	v_mul_f32_e32 v125, 0x3f29c268, v84
	v_add_f32_e32 v10, v10, v11
	v_fma_f32 v11, v71, s11, -v105
	v_add_f32_e32 v50, v51, v50
	v_fma_f32 v51, v83, s3, -v125
	v_mul_f32_e32 v126, 0x3f7e222b, v87
	v_add_f32_e32 v10, v11, v10
	v_fma_f32 v11, v74, s10, -v106
	v_add_f32_e32 v50, v51, v50
	v_fma_f32 v51, v86, s10, -v126
	v_mul_f32_e32 v127, 0x3eedf032, v89
	v_add_f32_e32 v10, v11, v10
	v_fma_f32 v11, v77, s2, -v107
	v_fmac_f32_e32 v108, 0xbf3f9e67, v78
	v_add_f32_e32 v50, v51, v50
	v_mov_b32_e32 v51, v127
	v_add_f32_e32 v10, v11, v10
	v_add_f32_e32 v11, v108, v63
	v_fmac_f32_e32 v54, 0x3f62ad3f, v81
	v_fmac_f32_e32 v51, 0x3f62ad3f, v91
	v_add_f32_e32 v11, v54, v11
	v_fmac_f32_e32 v109, 0x3df6dbef, v83
	v_add_f32_e32 v51, v51, v33
	v_mul_f32_e32 v33, 0x3eedf032, v93
	v_mul_f32_e32 v128, 0xbf52af12, v5
	v_add_f32_e32 v11, v109, v11
	v_fmac_f32_e32 v110, 0xbf788fa5, v86
	v_fma_f32 v53, v92, s11, -v33
	v_mov_b32_e32 v5, v128
	v_mul_f32_e32 v17, 0xbf7e222b, v17
	v_add_f32_e32 v4, v4, v12
	v_add_f32_e32 v12, v110, v11
	v_fma_f32 v11, v91, s7, -v111
	v_fmac_f32_e32 v21, 0x3f116cb1, v92
	v_add_f32_e32 v50, v53, v50
	v_fmac_f32_e32 v5, 0x3f116cb1, v69
	v_mov_b32_e32 v53, v17
	v_add_f32_e32 v11, v11, v10
	v_add_f32_e32 v10, v21, v12
	v_fma_f32 v12, v69, s2, -v112
	v_add_f32_e32 v5, v5, v57
	v_fmac_f32_e32 v53, 0x3df6dbef, v71
	v_mul_f32_e32 v57, 0xbf6f5d39, v72
	v_add_f32_e32 v12, v12, v13
	v_fma_f32 v13, v71, s6, -v113
	v_add_f32_e32 v5, v53, v5
	v_mov_b32_e32 v53, v57
	v_add_f32_e32 v12, v13, v12
	v_fma_f32 v13, v74, s11, -v114
	v_fmac_f32_e32 v53, 0xbeb58ec6, v74
	v_mul_f32_e32 v72, 0xbf29c268, v75
	v_add_f32_e32 v12, v13, v12
	v_fma_f32 v13, v77, s7, -v115
	v_fmac_f32_e32 v116, 0xbf788fa5, v78
	v_add_f32_e32 v5, v53, v5
	v_mov_b32_e32 v53, v72
	v_add_f32_e32 v12, v13, v12
	v_add_f32_e32 v13, v116, v64
	v_fmac_f32_e32 v55, 0xbeb58ec6, v81
	v_fmac_f32_e32 v53, 0xbf3f9e67, v77
	v_mul_f32_e32 v75, 0xbf52af12, v79
	v_add_f32_e32 v13, v55, v13
	v_fmac_f32_e32 v117, 0x3f62ad3f, v83
	v_add_f32_e32 v5, v53, v5
	v_fma_f32 v53, v78, s7, -v75
	v_add_f32_e32 v13, v117, v13
	v_fmac_f32_e32 v118, 0x3f116cb1, v86
	v_add_f32_e32 v53, v53, v58
	v_mul_f32_e32 v58, 0xbf7e222b, v52
	v_add_f32_e32 v4, v4, v14
	v_add_f32_e32 v14, v118, v13
	v_fma_f32 v13, v91, s3, -v119
	v_fmac_f32_e32 v23, 0xbf3f9e67, v92
	v_fma_f32 v52, v81, s10, -v58
	v_mul_f32_e32 v79, 0xbf6f5d39, v84
	v_add_f32_e32 v13, v13, v12
	v_add_f32_e32 v12, v23, v14
	v_fma_f32 v14, v69, s6, -v120
	v_add_f32_e32 v52, v52, v53
	v_fma_f32 v53, v83, s6, -v79
	v_mul_f32_e32 v84, 0xbf29c268, v87
	v_add_f32_e32 v14, v14, v15
	v_fma_f32 v15, v71, s2, -v121
	v_add_f32_e32 v52, v53, v52
	v_fma_f32 v53, v86, s3, -v84
	v_mul_f32_e32 v87, 0xbe750f2a, v89
	v_add_f32_e32 v14, v15, v14
	v_fma_f32 v15, v74, s3, -v122
	v_add_f32_e32 v52, v53, v52
	v_mov_b32_e32 v53, v87
	v_add_f32_e32 v14, v15, v14
	v_fma_f32 v15, v77, s10, -v123
	v_fmac_f32_e32 v124, 0xbeb58ec6, v78
	v_fmac_f32_e32 v53, 0xbf788fa5, v91
	v_mul_f32_e32 v89, 0xbe750f2a, v93
	v_add_f32_e32 v14, v15, v14
	v_add_f32_e32 v15, v124, v65
	v_fmac_f32_e32 v56, 0xbf788fa5, v81
	v_add_f32_e32 v53, v53, v5
	v_fma_f32 v5, v92, s2, -v89
	v_add_f32_e32 v15, v56, v15
	v_fmac_f32_e32 v125, 0xbf3f9e67, v83
	v_add_f32_e32 v52, v5, v52
	v_add_f32_e32 v5, v59, v45
	;; [unrolled: 1-line block ×3, first 2 shown]
	v_fmac_f32_e32 v126, 0x3df6dbef, v86
	v_add_f32_e32 v5, v5, v44
	v_add_f32_e32 v4, v4, v16
	v_add_f32_e32 v16, v126, v15
	v_fma_f32 v15, v91, s11, -v127
	v_fmac_f32_e32 v33, 0x3f62ad3f, v92
	v_add_f32_e32 v5, v5, v43
	v_add_f32_e32 v15, v15, v14
	v_add_f32_e32 v14, v33, v16
	v_fma_f32 v16, v69, s7, -v128
	;; [unrolled: 5-line block ×3, first 2 shown]
	v_add_f32_e32 v18, v75, v67
	v_fmac_f32_e32 v58, 0x3df6dbef, v81
	v_add_f32_e32 v5, v5, v41
	v_add_f32_e32 v16, v17, v16
	v_fma_f32 v17, v74, s6, -v57
	v_add_f32_e32 v18, v58, v18
	v_fmac_f32_e32 v79, 0xbeb58ec6, v83
	v_add_f32_e32 v5, v5, v40
	v_add_f32_e32 v16, v17, v16
	v_fma_f32 v17, v77, s3, -v72
	;; [unrolled: 5-line block ×3, first 2 shown]
	v_add_f32_e32 v18, v84, v18
	v_fmac_f32_e32 v89, 0xbf788fa5, v92
	v_add_f32_e32 v5, v5, v38
	v_add_f32_e32 v17, v17, v16
	;; [unrolled: 1-line block ×3, first 2 shown]
	v_lshrrev_b32_e32 v18, 1, v24
	v_add_f32_e32 v5, v5, v37
	v_add_f32_e32 v4, v4, v20
	v_mul_u32_u24_e32 v18, 26, v18
	v_add_f32_e32 v5, v5, v36
	v_add_f32_e32 v4, v4, v22
	v_or_b32_e32 v18, v18, v30
	v_add_f32_e32 v5, v5, v35
	v_add_f32_e32 v4, v4, v32
	v_lshl_add_u32 v18, v18, 3, 0
	ds_write2_b64 v18, v[4:5], v[52:53] offset1:2
	ds_write2_b64 v18, v[50:51], v[48:49] offset0:4 offset1:6
	ds_write2_b64 v18, v[46:47], v[2:3] offset0:8 offset1:10
	;; [unrolled: 1-line block ×5, first 2 shown]
	ds_write_b64 v18, v[16:17] offset:192
.LBB0_19:
	s_or_b64 exec, exec, s[4:5]
	s_movk_i32 s2, 0x4f
	v_mul_lo_u16_sdwa v0, v24, s2 dst_sel:DWORD dst_unused:UNUSED_PAD src0_sel:BYTE_0 src1_sel:DWORD
	v_lshrrev_b16_e32 v23, 11, v0
	v_mul_lo_u16_e32 v0, 26, v23
	v_sub_u16_e32 v30, v24, v0
	v_mov_b32_e32 v0, 6
	v_mul_u32_u24_sdwa v0, v30, v0 dst_sel:DWORD dst_unused:UNUSED_PAD src0_sel:BYTE_0 src1_sel:DWORD
	v_lshlrev_b32_e32 v0, 3, v0
	s_waitcnt lgkmcnt(0)
	s_barrier
	global_load_dwordx4 v[5:8], v0, s[8:9] offset:192
	global_load_dwordx4 v[9:12], v0, s[8:9] offset:208
	;; [unrolled: 1-line block ×3, first 2 shown]
	v_lshl_add_u32 v4, v29, 3, 0
	ds_read_b64 v[0:1], v34
	v_lshl_add_u32 v3, v31, 3, 0
	v_lshl_add_u32 v2, v28, 3, 0
	v_add_u32_e32 v39, 0x1600, v34
	ds_read_b64 v[21:22], v4
	ds_read_b64 v[32:33], v3
	;; [unrolled: 1-line block ×3, first 2 shown]
	ds_read2_b64 v[17:20], v39 offset0:24 offset1:206
	ds_read_b64 v[37:38], v34 offset:8736
	s_mov_b32 s2, 0x3f5ff5aa
	s_mov_b32 s3, 0x3f3bfb3b
	;; [unrolled: 1-line block ×4, first 2 shown]
	s_waitcnt vmcnt(0) lgkmcnt(0)
	s_barrier
	s_add_u32 s6, s8, 0x27c0
	s_addc_u32 s7, s9, 0
	v_mul_f32_e32 v40, v6, v22
	v_mul_f32_e32 v6, v6, v21
	;; [unrolled: 1-line block ×12, first 2 shown]
	v_fma_f32 v21, v5, v21, -v40
	v_fmac_f32_e32 v6, v5, v22
	v_fma_f32 v5, v7, v32, -v41
	v_fmac_f32_e32 v8, v7, v33
	;; [unrolled: 2-line block ×6, first 2 shown]
	v_add_f32_e32 v15, v21, v13
	v_add_f32_e32 v17, v6, v16
	v_sub_f32_e32 v6, v6, v16
	v_add_f32_e32 v16, v5, v11
	v_add_f32_e32 v18, v8, v14
	v_sub_f32_e32 v5, v5, v11
	v_sub_f32_e32 v8, v8, v14
	v_add_f32_e32 v11, v7, v9
	v_add_f32_e32 v14, v10, v12
	v_sub_f32_e32 v7, v9, v7
	v_sub_f32_e32 v9, v12, v10
	v_add_f32_e32 v10, v16, v15
	v_add_f32_e32 v12, v18, v17
	;; [unrolled: 1-line block ×3, first 2 shown]
	v_sub_f32_e32 v13, v21, v13
	v_sub_f32_e32 v19, v16, v15
	;; [unrolled: 1-line block ×6, first 2 shown]
	v_add_f32_e32 v21, v7, v5
	v_add_f32_e32 v22, v9, v8
	v_sub_f32_e32 v33, v9, v8
	v_add_f32_e32 v11, v14, v12
	v_add_f32_e32 v0, v10, v0
	v_sub_f32_e32 v18, v14, v18
	v_sub_f32_e32 v32, v7, v5
	;; [unrolled: 1-line block ×6, first 2 shown]
	v_add_f32_e32 v12, v21, v13
	v_add_f32_e32 v6, v22, v6
	v_mul_f32_e32 v13, 0x3f4a47b2, v15
	v_mul_f32_e32 v14, 0x3f4a47b2, v17
	;; [unrolled: 1-line block ×4, first 2 shown]
	v_add_f32_e32 v1, v11, v1
	v_mov_b32_e32 v35, v0
	v_mul_f32_e32 v17, 0x3d64c772, v18
	v_mul_f32_e32 v21, 0xbf08b237, v32
	v_mul_f32_e32 v32, 0x3f5ff5aa, v5
	v_mov_b32_e32 v36, v1
	v_fmac_f32_e32 v35, 0xbf955555, v10
	v_fma_f32 v10, v19, s3, -v15
	v_fma_f32 v15, v19, s4, -v13
	v_fmac_f32_e32 v13, 0x3d64c772, v16
	v_fma_f32 v16, v20, s4, -v14
	v_fmac_f32_e32 v14, 0x3d64c772, v18
	v_fma_f32 v18, v8, s2, -v22
	v_mul_f32_e32 v33, 0x3f5ff5aa, v8
	v_fmac_f32_e32 v36, 0xbf955555, v11
	v_fma_f32 v11, v20, s3, -v17
	v_fma_f32 v17, v5, s2, -v21
	;; [unrolled: 1-line block ×3, first 2 shown]
	v_add_f32_e32 v32, v13, v35
	v_add_f32_e32 v13, v10, v35
	v_fmac_f32_e32 v18, 0x3ee1c552, v6
	v_fmac_f32_e32 v21, 0x3eae86e6, v7
	;; [unrolled: 1-line block ×3, first 2 shown]
	v_fma_f32 v20, v9, s5, -v33
	v_add_f32_e32 v33, v14, v36
	v_add_f32_e32 v14, v11, v36
	v_fmac_f32_e32 v17, 0x3ee1c552, v12
	v_sub_f32_e32 v9, v13, v18
	v_add_f32_e32 v11, v18, v13
	v_mov_b32_e32 v18, 3
	v_fmac_f32_e32 v21, 0x3ee1c552, v12
	v_fmac_f32_e32 v22, 0x3ee1c552, v6
	;; [unrolled: 1-line block ×3, first 2 shown]
	v_add_f32_e32 v10, v17, v14
	v_sub_f32_e32 v12, v14, v17
	v_mul_u32_u24_e32 v17, 0x5b0, v23
	v_lshlrev_b32_sdwa v18, v18, v30 dst_sel:DWORD dst_unused:UNUSED_PAD src0_sel:DWORD src1_sel:BYTE_0
	v_add_f32_e32 v15, v15, v35
	v_add_f32_e32 v16, v16, v36
	v_fmac_f32_e32 v20, 0x3ee1c552, v6
	v_add_f32_e32 v5, v22, v32
	v_sub_f32_e32 v6, v33, v21
	v_add3_u32 v17, 0, v17, v18
	v_add_f32_e32 v7, v20, v15
	v_sub_f32_e32 v8, v16, v19
	v_sub_f32_e32 v13, v15, v20
	v_add_f32_e32 v14, v19, v16
	v_sub_f32_e32 v15, v32, v22
	v_add_f32_e32 v16, v21, v33
	ds_write2_b64 v17, v[0:1], v[5:6] offset1:26
	ds_write2_b64 v17, v[7:8], v[9:10] offset0:52 offset1:78
	ds_write2_b64 v17, v[11:12], v[13:14] offset0:104 offset1:130
	ds_write_b64 v17, v[15:16] offset:1248
	v_mul_u32_u24_e32 v0, 6, v24
	v_lshlrev_b32_e32 v0, 3, v0
	s_waitcnt lgkmcnt(0)
	s_barrier
	global_load_dwordx4 v[5:8], v0, s[8:9] offset:1440
	global_load_dwordx4 v[9:12], v0, s[8:9] offset:1456
	;; [unrolled: 1-line block ×3, first 2 shown]
	ds_read_b64 v[0:1], v34
	ds_read_b64 v[21:22], v4
	;; [unrolled: 1-line block ×4, first 2 shown]
	ds_read2_b64 v[17:20], v39 offset0:24 offset1:206
	ds_read_b64 v[37:38], v34 offset:8736
	s_waitcnt vmcnt(0) lgkmcnt(0)
	s_barrier
	v_mul_f32_e32 v23, v6, v22
	v_mul_f32_e32 v6, v6, v21
	;; [unrolled: 1-line block ×10, first 2 shown]
	v_fma_f32 v21, v5, v21, -v23
	v_fmac_f32_e32 v6, v5, v22
	v_fma_f32 v5, v7, v32, -v30
	v_fmac_f32_e32 v8, v7, v33
	;; [unrolled: 2-line block ×5, first 2 shown]
	v_mul_f32_e32 v13, v16, v38
	v_mul_f32_e32 v16, v16, v37
	v_fma_f32 v13, v15, v37, -v13
	v_fmac_f32_e32 v16, v15, v38
	v_add_f32_e32 v15, v21, v13
	v_add_f32_e32 v17, v6, v16
	v_sub_f32_e32 v6, v6, v16
	v_add_f32_e32 v16, v5, v11
	v_add_f32_e32 v18, v8, v14
	v_sub_f32_e32 v5, v5, v11
	v_sub_f32_e32 v8, v8, v14
	v_add_f32_e32 v11, v7, v9
	v_add_f32_e32 v14, v10, v12
	v_sub_f32_e32 v7, v9, v7
	v_sub_f32_e32 v9, v12, v10
	v_add_f32_e32 v10, v16, v15
	v_add_f32_e32 v12, v18, v17
	;; [unrolled: 1-line block ×3, first 2 shown]
	v_sub_f32_e32 v19, v16, v15
	v_sub_f32_e32 v15, v15, v11
	v_sub_f32_e32 v16, v11, v16
	v_add_f32_e32 v11, v14, v12
	v_add_f32_e32 v0, v10, v0
	v_sub_f32_e32 v13, v21, v13
	v_sub_f32_e32 v20, v18, v17
	;; [unrolled: 1-line block ×4, first 2 shown]
	v_add_f32_e32 v21, v7, v5
	v_add_f32_e32 v22, v9, v8
	v_sub_f32_e32 v23, v7, v5
	v_sub_f32_e32 v30, v9, v8
	v_add_f32_e32 v1, v11, v1
	v_mov_b32_e32 v32, v0
	v_sub_f32_e32 v7, v13, v7
	v_sub_f32_e32 v9, v6, v9
	;; [unrolled: 1-line block ×4, first 2 shown]
	v_add_f32_e32 v12, v21, v13
	v_add_f32_e32 v6, v22, v6
	v_mul_f32_e32 v13, 0x3f4a47b2, v15
	v_mul_f32_e32 v14, 0x3f4a47b2, v17
	;; [unrolled: 1-line block ×6, first 2 shown]
	v_fmac_f32_e32 v32, 0xbf955555, v10
	v_mov_b32_e32 v10, v1
	v_mul_f32_e32 v23, 0x3f5ff5aa, v5
	v_mul_f32_e32 v30, 0x3f5ff5aa, v8
	v_fmac_f32_e32 v10, 0xbf955555, v11
	v_fma_f32 v11, v19, s3, -v15
	v_fma_f32 v15, v20, s3, -v17
	;; [unrolled: 1-line block ×3, first 2 shown]
	v_fmac_f32_e32 v13, 0x3d64c772, v16
	v_fma_f32 v16, v20, s4, -v14
	v_fmac_f32_e32 v14, 0x3d64c772, v18
	v_fma_f32 v18, v5, s2, -v21
	;; [unrolled: 2-line block ×4, first 2 shown]
	v_fma_f32 v23, v9, s5, -v30
	v_add_f32_e32 v30, v13, v32
	v_add_f32_e32 v33, v14, v10
	v_fmac_f32_e32 v21, 0x3ee1c552, v12
	v_fmac_f32_e32 v22, 0x3ee1c552, v6
	v_add_f32_e32 v11, v11, v32
	v_add_f32_e32 v13, v15, v10
	;; [unrolled: 1-line block ×4, first 2 shown]
	v_fmac_f32_e32 v18, 0x3ee1c552, v12
	v_fmac_f32_e32 v19, 0x3ee1c552, v6
	;; [unrolled: 1-line block ×4, first 2 shown]
	v_add_f32_e32 v5, v22, v30
	v_sub_f32_e32 v6, v33, v21
	v_add_f32_e32 v7, v23, v14
	v_sub_f32_e32 v8, v15, v20
	v_sub_f32_e32 v9, v11, v19
	v_add_f32_e32 v10, v18, v13
	ds_write2_b64 v34, v[0:1], v[5:6] offset1:182
	v_add_u32_e32 v0, 0xa00, v34
	v_add_f32_e32 v11, v19, v11
	v_sub_f32_e32 v12, v13, v18
	v_sub_f32_e32 v13, v14, v23
	v_add_f32_e32 v14, v20, v15
	v_sub_f32_e32 v15, v30, v22
	v_add_f32_e32 v16, v21, v33
	ds_write2_b64 v0, v[7:8], v[9:10] offset0:44 offset1:226
	ds_write2_b64 v39, v[11:12], v[13:14] offset0:24 offset1:206
	ds_write_b64 v34, v[15:16] offset:8736
	s_waitcnt lgkmcnt(0)
	s_barrier
	ds_read_b64 v[0:1], v34
	v_sub_u32_e32 v5, 0, v25
	v_cmp_ne_u32_e64 s[2:3], 0, v24
                                        ; implicit-def: $vgpr7
                                        ; implicit-def: $vgpr6
	s_and_saveexec_b64 s[4:5], s[2:3]
	s_xor_b64 s[4:5], exec, s[4:5]
	s_cbranch_execz .LBB0_21
; %bb.20:
	v_mov_b32_e32 v25, 0
	v_lshlrev_b64 v[6:7], 3, v[24:25]
	v_mov_b32_e32 v8, s7
	v_add_co_u32_e64 v6, s[2:3], s6, v6
	v_addc_co_u32_e64 v7, s[2:3], v8, v7, s[2:3]
	global_load_dwordx2 v[7:8], v[6:7], off
	ds_read_b64 v[9:10], v5 offset:10192
	s_waitcnt lgkmcnt(0)
	v_add_f32_e32 v11, v9, v0
	v_add_f32_e32 v6, v10, v1
	v_sub_f32_e32 v0, v0, v9
	v_sub_f32_e32 v1, v1, v10
	v_mul_f32_e32 v9, 0.5, v6
	v_mul_f32_e32 v0, 0.5, v0
	;; [unrolled: 1-line block ×3, first 2 shown]
	s_waitcnt vmcnt(0)
	v_mul_f32_e32 v10, v8, v0
	v_fma_f32 v12, v9, v8, v1
	v_fma_f32 v1, v9, v8, -v1
	v_fma_f32 v6, 0.5, v11, v10
	v_fma_f32 v8, -v7, v0, v12
	v_fma_f32 v10, v11, 0.5, -v10
	v_fma_f32 v0, -v7, v0, v1
	v_fmac_f32_e32 v6, v7, v9
	ds_write_b32 v34, v8 offset:4
	v_fma_f32 v7, -v7, v9, v10
	ds_write_b32 v5, v0 offset:10196
                                        ; implicit-def: $vgpr0_vgpr1
.LBB0_21:
	s_andn2_saveexec_b64 s[2:3], s[4:5]
	s_cbranch_execz .LBB0_23
; %bb.22:
	v_mov_b32_e32 v8, 0
	ds_write_b32 v34, v8 offset:4
	ds_write_b32 v5, v8 offset:10196
	ds_read_b32 v9, v8 offset:5100
	s_waitcnt lgkmcnt(3)
	v_add_f32_e32 v6, v0, v1
	v_sub_f32_e32 v7, v0, v1
	s_waitcnt lgkmcnt(0)
	v_xor_b32_e32 v0, 0x80000000, v9
	ds_write_b32 v8, v0 offset:5100
.LBB0_23:
	s_or_b64 exec, exec, s[2:3]
	v_mov_b32_e32 v30, 0
	s_waitcnt lgkmcnt(0)
	v_lshlrev_b64 v[0:1], 3, v[29:30]
	v_mov_b32_e32 v8, s7
	v_add_co_u32_e64 v0, s[2:3], s6, v0
	v_addc_co_u32_e64 v1, s[2:3], v8, v1, s[2:3]
	global_load_dwordx2 v[0:1], v[0:1], off
	v_mov_b32_e32 v32, v30
	v_lshlrev_b64 v[8:9], 3, v[31:32]
	v_mov_b32_e32 v10, s7
	v_add_co_u32_e64 v8, s[2:3], s6, v8
	v_addc_co_u32_e64 v9, s[2:3], v10, v9, s[2:3]
	global_load_dwordx2 v[8:9], v[8:9], off
	ds_write_b32 v34, v6
	ds_write_b32 v5, v7 offset:10192
	ds_read_b64 v[6:7], v4
	ds_read_b64 v[10:11], v5 offset:8736
	s_waitcnt lgkmcnt(0)
	v_add_f32_e32 v12, v6, v10
	v_sub_f32_e32 v6, v6, v10
	v_add_f32_e32 v13, v7, v11
	v_sub_f32_e32 v7, v7, v11
	v_mul_f32_e32 v11, 0.5, v6
	v_mul_f32_e32 v10, 0.5, v13
	;; [unrolled: 1-line block ×3, first 2 shown]
	s_waitcnt vmcnt(1)
	v_mul_f32_e32 v13, v1, v11
	v_fma_f32 v7, v10, v1, v6
	v_fma_f32 v1, v10, v1, -v6
	v_fma_f32 v6, 0.5, v12, v13
	v_fma_f32 v7, -v0, v11, v7
	v_fma_f32 v12, v12, 0.5, -v13
	v_fmac_f32_e32 v6, v0, v10
	v_fma_f32 v1, -v0, v11, v1
	v_fma_f32 v0, -v0, v10, v12
	ds_write_b64 v4, v[6:7]
	ds_write_b64 v5, v[0:1] offset:8736
	ds_read_b64 v[0:1], v3
	ds_read_b64 v[6:7], v5 offset:7280
	s_waitcnt lgkmcnt(0)
	v_add_f32_e32 v4, v0, v6
	v_sub_f32_e32 v0, v0, v6
	v_add_f32_e32 v10, v1, v7
	v_sub_f32_e32 v1, v1, v7
	v_mul_f32_e32 v7, 0.5, v0
	v_mul_f32_e32 v6, 0.5, v10
	;; [unrolled: 1-line block ×3, first 2 shown]
	s_waitcnt vmcnt(0)
	v_mul_f32_e32 v10, v9, v7
	v_fma_f32 v1, v6, v9, v0
	v_fma_f32 v9, v6, v9, -v0
	v_fma_f32 v0, 0.5, v4, v10
	v_fma_f32 v1, -v8, v7, v1
	v_fma_f32 v4, v4, 0.5, -v10
	v_fmac_f32_e32 v0, v8, v6
	v_fma_f32 v7, -v8, v7, v9
	v_fma_f32 v6, -v8, v6, v4
	ds_write_b64 v3, v[0:1]
	ds_write_b64 v5, v[6:7] offset:7280
	s_and_saveexec_b64 s[2:3], vcc
	s_cbranch_execz .LBB0_25
; %bb.24:
	v_mov_b32_e32 v29, v30
	v_lshlrev_b64 v[0:1], 3, v[28:29]
	v_mov_b32_e32 v3, s7
	v_add_co_u32_e32 v0, vcc, s6, v0
	v_addc_co_u32_e32 v1, vcc, v3, v1, vcc
	global_load_dwordx2 v[0:1], v[0:1], off
	ds_read_b64 v[3:4], v2
	ds_read_b64 v[6:7], v5 offset:5824
	s_waitcnt lgkmcnt(0)
	v_add_f32_e32 v8, v3, v6
	v_sub_f32_e32 v3, v3, v6
	v_add_f32_e32 v9, v4, v7
	v_sub_f32_e32 v4, v4, v7
	v_mul_f32_e32 v7, 0.5, v3
	v_mul_f32_e32 v6, 0.5, v9
	;; [unrolled: 1-line block ×3, first 2 shown]
	s_waitcnt vmcnt(0)
	v_mul_f32_e32 v9, v1, v7
	v_fma_f32 v4, v6, v1, v3
	v_fma_f32 v1, v6, v1, -v3
	v_fma_f32 v3, 0.5, v8, v9
	v_fma_f32 v4, -v0, v7, v4
	v_fma_f32 v8, v8, 0.5, -v9
	v_fmac_f32_e32 v3, v0, v6
	v_fma_f32 v1, -v0, v7, v1
	v_fma_f32 v0, -v0, v6, v8
	ds_write_b64 v2, v[3:4]
	ds_write_b64 v5, v[0:1] offset:5824
.LBB0_25:
	s_or_b64 exec, exec, s[2:3]
	s_waitcnt lgkmcnt(0)
	s_barrier
	s_and_saveexec_b64 s[2:3], s[0:1]
	s_cbranch_execz .LBB0_28
; %bb.26:
	v_mov_b32_e32 v25, 0
	ds_read2_b64 v[2:5], v34 offset1:182
	v_mov_b32_e32 v0, s13
	v_add_co_u32_e32 v1, vcc, s12, v26
	v_lshlrev_b64 v[10:11], 3, v[24:25]
	v_add_u32_e32 v6, 0xa00, v34
	v_addc_co_u32_e32 v0, vcc, v0, v27, vcc
	ds_read2_b64 v[6:9], v6 offset0:44 offset1:226
	v_add_co_u32_e32 v10, vcc, v1, v10
	v_addc_co_u32_e32 v11, vcc, v0, v11, vcc
	s_waitcnt lgkmcnt(1)
	global_store_dwordx2 v[10:11], v[2:3], off
	global_store_dwordx2 v[10:11], v[4:5], off offset:1456
	s_waitcnt lgkmcnt(0)
	global_store_dwordx2 v[10:11], v[6:7], off offset:2912
	v_add_u32_e32 v2, 0x1600, v34
	ds_read2_b64 v[2:5], v2 offset0:24 offset1:206
	s_movk_i32 s0, 0x1000
	v_add_co_u32_e32 v6, vcc, s0, v10
	v_addc_co_u32_e32 v7, vcc, 0, v11, vcc
	global_store_dwordx2 v[6:7], v[8:9], off offset:272
	s_waitcnt lgkmcnt(0)
	global_store_dwordx2 v[6:7], v[2:3], off offset:1728
	global_store_dwordx2 v[6:7], v[4:5], off offset:3184
	ds_read_b64 v[2:3], v34 offset:8736
	v_add_co_u32_e32 v4, vcc, 0x2000, v10
	v_addc_co_u32_e32 v5, vcc, 0, v11, vcc
	s_movk_i32 s0, 0xb5
	v_cmp_eq_u32_e32 vcc, s0, v24
	s_waitcnt lgkmcnt(0)
	global_store_dwordx2 v[4:5], v[2:3], off offset:544
	s_and_b64 exec, exec, vcc
	s_cbranch_execz .LBB0_28
; %bb.27:
	ds_read_b64 v[2:3], v25 offset:10192
	v_add_co_u32_e32 v4, vcc, 0x2000, v1
	v_addc_co_u32_e32 v5, vcc, 0, v0, vcc
	s_waitcnt lgkmcnt(0)
	global_store_dwordx2 v[4:5], v[2:3], off offset:2000
.LBB0_28:
	s_endpgm
	.section	.rodata,"a",@progbits
	.p2align	6, 0x0
	.amdhsa_kernel fft_rtc_fwd_len1274_factors_2_13_7_7_wgs_182_tpt_182_halfLds_sp_ip_CI_unitstride_sbrr_R2C_dirReg
		.amdhsa_group_segment_fixed_size 0
		.amdhsa_private_segment_fixed_size 0
		.amdhsa_kernarg_size 88
		.amdhsa_user_sgpr_count 6
		.amdhsa_user_sgpr_private_segment_buffer 1
		.amdhsa_user_sgpr_dispatch_ptr 0
		.amdhsa_user_sgpr_queue_ptr 0
		.amdhsa_user_sgpr_kernarg_segment_ptr 1
		.amdhsa_user_sgpr_dispatch_id 0
		.amdhsa_user_sgpr_flat_scratch_init 0
		.amdhsa_user_sgpr_private_segment_size 0
		.amdhsa_uses_dynamic_stack 0
		.amdhsa_system_sgpr_private_segment_wavefront_offset 0
		.amdhsa_system_sgpr_workgroup_id_x 1
		.amdhsa_system_sgpr_workgroup_id_y 0
		.amdhsa_system_sgpr_workgroup_id_z 0
		.amdhsa_system_sgpr_workgroup_info 0
		.amdhsa_system_vgpr_workitem_id 0
		.amdhsa_next_free_vgpr 129
		.amdhsa_next_free_sgpr 22
		.amdhsa_reserve_vcc 1
		.amdhsa_reserve_flat_scratch 0
		.amdhsa_float_round_mode_32 0
		.amdhsa_float_round_mode_16_64 0
		.amdhsa_float_denorm_mode_32 3
		.amdhsa_float_denorm_mode_16_64 3
		.amdhsa_dx10_clamp 1
		.amdhsa_ieee_mode 1
		.amdhsa_fp16_overflow 0
		.amdhsa_exception_fp_ieee_invalid_op 0
		.amdhsa_exception_fp_denorm_src 0
		.amdhsa_exception_fp_ieee_div_zero 0
		.amdhsa_exception_fp_ieee_overflow 0
		.amdhsa_exception_fp_ieee_underflow 0
		.amdhsa_exception_fp_ieee_inexact 0
		.amdhsa_exception_int_div_zero 0
	.end_amdhsa_kernel
	.text
.Lfunc_end0:
	.size	fft_rtc_fwd_len1274_factors_2_13_7_7_wgs_182_tpt_182_halfLds_sp_ip_CI_unitstride_sbrr_R2C_dirReg, .Lfunc_end0-fft_rtc_fwd_len1274_factors_2_13_7_7_wgs_182_tpt_182_halfLds_sp_ip_CI_unitstride_sbrr_R2C_dirReg
                                        ; -- End function
	.section	.AMDGPU.csdata,"",@progbits
; Kernel info:
; codeLenInByte = 7456
; NumSgprs: 26
; NumVgprs: 129
; ScratchSize: 0
; MemoryBound: 0
; FloatMode: 240
; IeeeMode: 1
; LDSByteSize: 0 bytes/workgroup (compile time only)
; SGPRBlocks: 3
; VGPRBlocks: 32
; NumSGPRsForWavesPerEU: 26
; NumVGPRsForWavesPerEU: 129
; Occupancy: 1
; WaveLimiterHint : 1
; COMPUTE_PGM_RSRC2:SCRATCH_EN: 0
; COMPUTE_PGM_RSRC2:USER_SGPR: 6
; COMPUTE_PGM_RSRC2:TRAP_HANDLER: 0
; COMPUTE_PGM_RSRC2:TGID_X_EN: 1
; COMPUTE_PGM_RSRC2:TGID_Y_EN: 0
; COMPUTE_PGM_RSRC2:TGID_Z_EN: 0
; COMPUTE_PGM_RSRC2:TIDIG_COMP_CNT: 0
	.type	__hip_cuid_9d79da3cf6866274,@object ; @__hip_cuid_9d79da3cf6866274
	.section	.bss,"aw",@nobits
	.globl	__hip_cuid_9d79da3cf6866274
__hip_cuid_9d79da3cf6866274:
	.byte	0                               ; 0x0
	.size	__hip_cuid_9d79da3cf6866274, 1

	.ident	"AMD clang version 19.0.0git (https://github.com/RadeonOpenCompute/llvm-project roc-6.4.0 25133 c7fe45cf4b819c5991fe208aaa96edf142730f1d)"
	.section	".note.GNU-stack","",@progbits
	.addrsig
	.addrsig_sym __hip_cuid_9d79da3cf6866274
	.amdgpu_metadata
---
amdhsa.kernels:
  - .args:
      - .actual_access:  read_only
        .address_space:  global
        .offset:         0
        .size:           8
        .value_kind:     global_buffer
      - .offset:         8
        .size:           8
        .value_kind:     by_value
      - .actual_access:  read_only
        .address_space:  global
        .offset:         16
        .size:           8
        .value_kind:     global_buffer
      - .actual_access:  read_only
        .address_space:  global
        .offset:         24
        .size:           8
        .value_kind:     global_buffer
      - .offset:         32
        .size:           8
        .value_kind:     by_value
      - .actual_access:  read_only
        .address_space:  global
        .offset:         40
        .size:           8
        .value_kind:     global_buffer
      - .actual_access:  read_only
        .address_space:  global
        .offset:         48
        .size:           8
        .value_kind:     global_buffer
      - .offset:         56
        .size:           4
        .value_kind:     by_value
      - .actual_access:  read_only
        .address_space:  global
        .offset:         64
        .size:           8
        .value_kind:     global_buffer
      - .actual_access:  read_only
        .address_space:  global
        .offset:         72
        .size:           8
        .value_kind:     global_buffer
      - .address_space:  global
        .offset:         80
        .size:           8
        .value_kind:     global_buffer
    .group_segment_fixed_size: 0
    .kernarg_segment_align: 8
    .kernarg_segment_size: 88
    .language:       OpenCL C
    .language_version:
      - 2
      - 0
    .max_flat_workgroup_size: 182
    .name:           fft_rtc_fwd_len1274_factors_2_13_7_7_wgs_182_tpt_182_halfLds_sp_ip_CI_unitstride_sbrr_R2C_dirReg
    .private_segment_fixed_size: 0
    .sgpr_count:     26
    .sgpr_spill_count: 0
    .symbol:         fft_rtc_fwd_len1274_factors_2_13_7_7_wgs_182_tpt_182_halfLds_sp_ip_CI_unitstride_sbrr_R2C_dirReg.kd
    .uniform_work_group_size: 1
    .uses_dynamic_stack: false
    .vgpr_count:     129
    .vgpr_spill_count: 0
    .wavefront_size: 64
amdhsa.target:   amdgcn-amd-amdhsa--gfx906
amdhsa.version:
  - 1
  - 2
...

	.end_amdgpu_metadata
